;; amdgpu-corpus repo=ROCm/rocFFT kind=compiled arch=gfx1030 opt=O3
	.text
	.amdgcn_target "amdgcn-amd-amdhsa--gfx1030"
	.amdhsa_code_object_version 6
	.protected	fft_rtc_fwd_len1680_factors_2_2_2_2_3_7_5_wgs_112_tpt_112_halfLds_half_op_CI_CI_unitstride_sbrr_dirReg ; -- Begin function fft_rtc_fwd_len1680_factors_2_2_2_2_3_7_5_wgs_112_tpt_112_halfLds_half_op_CI_CI_unitstride_sbrr_dirReg
	.globl	fft_rtc_fwd_len1680_factors_2_2_2_2_3_7_5_wgs_112_tpt_112_halfLds_half_op_CI_CI_unitstride_sbrr_dirReg
	.p2align	8
	.type	fft_rtc_fwd_len1680_factors_2_2_2_2_3_7_5_wgs_112_tpt_112_halfLds_half_op_CI_CI_unitstride_sbrr_dirReg,@function
fft_rtc_fwd_len1680_factors_2_2_2_2_3_7_5_wgs_112_tpt_112_halfLds_half_op_CI_CI_unitstride_sbrr_dirReg: ; @fft_rtc_fwd_len1680_factors_2_2_2_2_3_7_5_wgs_112_tpt_112_halfLds_half_op_CI_CI_unitstride_sbrr_dirReg
; %bb.0:
	s_clause 0x2
	s_load_dwordx4 s[12:15], s[4:5], 0x0
	s_load_dwordx4 s[8:11], s[4:5], 0x58
	;; [unrolled: 1-line block ×3, first 2 shown]
	v_mul_u32_u24_e32 v1, 0x24a, v0
	v_mov_b32_e32 v3, 0
	v_add_nc_u32_sdwa v5, s6, v1 dst_sel:DWORD dst_unused:UNUSED_PAD src0_sel:DWORD src1_sel:WORD_1
	v_mov_b32_e32 v1, 0
	v_mov_b32_e32 v6, v3
	v_mov_b32_e32 v2, 0
	s_waitcnt lgkmcnt(0)
	v_cmp_lt_u64_e64 s0, s[14:15], 2
	s_and_b32 vcc_lo, exec_lo, s0
	s_cbranch_vccnz .LBB0_8
; %bb.1:
	s_load_dwordx2 s[0:1], s[4:5], 0x10
	v_mov_b32_e32 v1, 0
	v_mov_b32_e32 v2, 0
	s_add_u32 s2, s18, 8
	s_addc_u32 s3, s19, 0
	s_add_u32 s6, s16, 8
	s_addc_u32 s7, s17, 0
	v_mov_b32_e32 v13, v2
	v_mov_b32_e32 v12, v1
	s_mov_b64 s[22:23], 1
	s_waitcnt lgkmcnt(0)
	s_add_u32 s20, s0, 8
	s_addc_u32 s21, s1, 0
.LBB0_2:                                ; =>This Inner Loop Header: Depth=1
	s_load_dwordx2 s[24:25], s[20:21], 0x0
                                        ; implicit-def: $vgpr14_vgpr15
	s_mov_b32 s0, exec_lo
	s_waitcnt lgkmcnt(0)
	v_or_b32_e32 v4, s25, v6
	v_cmpx_ne_u64_e32 0, v[3:4]
	s_xor_b32 s1, exec_lo, s0
	s_cbranch_execz .LBB0_4
; %bb.3:                                ;   in Loop: Header=BB0_2 Depth=1
	v_cvt_f32_u32_e32 v4, s24
	v_cvt_f32_u32_e32 v7, s25
	s_sub_u32 s0, 0, s24
	s_subb_u32 s26, 0, s25
	v_fmac_f32_e32 v4, 0x4f800000, v7
	v_rcp_f32_e32 v4, v4
	v_mul_f32_e32 v4, 0x5f7ffffc, v4
	v_mul_f32_e32 v7, 0x2f800000, v4
	v_trunc_f32_e32 v7, v7
	v_fmac_f32_e32 v4, 0xcf800000, v7
	v_cvt_u32_f32_e32 v7, v7
	v_cvt_u32_f32_e32 v4, v4
	v_mul_lo_u32 v8, s0, v7
	v_mul_hi_u32 v9, s0, v4
	v_mul_lo_u32 v10, s26, v4
	v_add_nc_u32_e32 v8, v9, v8
	v_mul_lo_u32 v9, s0, v4
	v_add_nc_u32_e32 v8, v8, v10
	v_mul_hi_u32 v10, v4, v9
	v_mul_lo_u32 v11, v4, v8
	v_mul_hi_u32 v14, v4, v8
	v_mul_hi_u32 v15, v7, v9
	v_mul_lo_u32 v9, v7, v9
	v_mul_hi_u32 v16, v7, v8
	v_mul_lo_u32 v8, v7, v8
	v_add_co_u32 v10, vcc_lo, v10, v11
	v_add_co_ci_u32_e32 v11, vcc_lo, 0, v14, vcc_lo
	v_add_co_u32 v9, vcc_lo, v10, v9
	v_add_co_ci_u32_e32 v9, vcc_lo, v11, v15, vcc_lo
	v_add_co_ci_u32_e32 v10, vcc_lo, 0, v16, vcc_lo
	v_add_co_u32 v8, vcc_lo, v9, v8
	v_add_co_ci_u32_e32 v9, vcc_lo, 0, v10, vcc_lo
	v_add_co_u32 v4, vcc_lo, v4, v8
	v_add_co_ci_u32_e32 v7, vcc_lo, v7, v9, vcc_lo
	v_mul_hi_u32 v8, s0, v4
	v_mul_lo_u32 v10, s26, v4
	v_mul_lo_u32 v9, s0, v7
	v_add_nc_u32_e32 v8, v8, v9
	v_mul_lo_u32 v9, s0, v4
	v_add_nc_u32_e32 v8, v8, v10
	v_mul_hi_u32 v10, v4, v9
	v_mul_lo_u32 v11, v4, v8
	v_mul_hi_u32 v14, v4, v8
	v_mul_hi_u32 v15, v7, v9
	v_mul_lo_u32 v9, v7, v9
	v_mul_hi_u32 v16, v7, v8
	v_mul_lo_u32 v8, v7, v8
	v_add_co_u32 v10, vcc_lo, v10, v11
	v_add_co_ci_u32_e32 v11, vcc_lo, 0, v14, vcc_lo
	v_add_co_u32 v9, vcc_lo, v10, v9
	v_add_co_ci_u32_e32 v9, vcc_lo, v11, v15, vcc_lo
	v_add_co_ci_u32_e32 v10, vcc_lo, 0, v16, vcc_lo
	v_add_co_u32 v8, vcc_lo, v9, v8
	v_add_co_ci_u32_e32 v9, vcc_lo, 0, v10, vcc_lo
	v_add_co_u32 v4, vcc_lo, v4, v8
	v_add_co_ci_u32_e32 v11, vcc_lo, v7, v9, vcc_lo
	v_mul_hi_u32 v16, v5, v4
	v_mad_u64_u32 v[9:10], null, v6, v4, 0
	v_mad_u64_u32 v[7:8], null, v5, v11, 0
	;; [unrolled: 1-line block ×3, first 2 shown]
	v_add_co_u32 v4, vcc_lo, v16, v7
	v_add_co_ci_u32_e32 v7, vcc_lo, 0, v8, vcc_lo
	v_add_co_u32 v4, vcc_lo, v4, v9
	v_add_co_ci_u32_e32 v4, vcc_lo, v7, v10, vcc_lo
	v_add_co_ci_u32_e32 v7, vcc_lo, 0, v15, vcc_lo
	v_add_co_u32 v4, vcc_lo, v4, v14
	v_add_co_ci_u32_e32 v9, vcc_lo, 0, v7, vcc_lo
	v_mul_lo_u32 v10, s25, v4
	v_mad_u64_u32 v[7:8], null, s24, v4, 0
	v_mul_lo_u32 v11, s24, v9
	v_sub_co_u32 v7, vcc_lo, v5, v7
	v_add3_u32 v8, v8, v11, v10
	v_sub_nc_u32_e32 v10, v6, v8
	v_subrev_co_ci_u32_e64 v10, s0, s25, v10, vcc_lo
	v_add_co_u32 v11, s0, v4, 2
	v_add_co_ci_u32_e64 v14, s0, 0, v9, s0
	v_sub_co_u32 v15, s0, v7, s24
	v_sub_co_ci_u32_e32 v8, vcc_lo, v6, v8, vcc_lo
	v_subrev_co_ci_u32_e64 v10, s0, 0, v10, s0
	v_cmp_le_u32_e32 vcc_lo, s24, v15
	v_cmp_eq_u32_e64 s0, s25, v8
	v_cndmask_b32_e64 v15, 0, -1, vcc_lo
	v_cmp_le_u32_e32 vcc_lo, s25, v10
	v_cndmask_b32_e64 v16, 0, -1, vcc_lo
	v_cmp_le_u32_e32 vcc_lo, s24, v7
	;; [unrolled: 2-line block ×3, first 2 shown]
	v_cndmask_b32_e64 v17, 0, -1, vcc_lo
	v_cmp_eq_u32_e32 vcc_lo, s25, v10
	v_cndmask_b32_e64 v7, v17, v7, s0
	v_cndmask_b32_e32 v10, v16, v15, vcc_lo
	v_add_co_u32 v15, vcc_lo, v4, 1
	v_add_co_ci_u32_e32 v16, vcc_lo, 0, v9, vcc_lo
	v_cmp_ne_u32_e32 vcc_lo, 0, v10
	v_cndmask_b32_e32 v8, v16, v14, vcc_lo
	v_cndmask_b32_e32 v10, v15, v11, vcc_lo
	v_cmp_ne_u32_e32 vcc_lo, 0, v7
	v_cndmask_b32_e32 v15, v9, v8, vcc_lo
	v_cndmask_b32_e32 v14, v4, v10, vcc_lo
.LBB0_4:                                ;   in Loop: Header=BB0_2 Depth=1
	s_andn2_saveexec_b32 s0, s1
	s_cbranch_execz .LBB0_6
; %bb.5:                                ;   in Loop: Header=BB0_2 Depth=1
	v_cvt_f32_u32_e32 v4, s24
	s_sub_i32 s1, 0, s24
	v_mov_b32_e32 v15, v3
	v_rcp_iflag_f32_e32 v4, v4
	v_mul_f32_e32 v4, 0x4f7ffffe, v4
	v_cvt_u32_f32_e32 v4, v4
	v_mul_lo_u32 v7, s1, v4
	v_mul_hi_u32 v7, v4, v7
	v_add_nc_u32_e32 v4, v4, v7
	v_mul_hi_u32 v4, v5, v4
	v_mul_lo_u32 v7, v4, s24
	v_add_nc_u32_e32 v8, 1, v4
	v_sub_nc_u32_e32 v7, v5, v7
	v_subrev_nc_u32_e32 v9, s24, v7
	v_cmp_le_u32_e32 vcc_lo, s24, v7
	v_cndmask_b32_e32 v7, v7, v9, vcc_lo
	v_cndmask_b32_e32 v4, v4, v8, vcc_lo
	v_cmp_le_u32_e32 vcc_lo, s24, v7
	v_add_nc_u32_e32 v8, 1, v4
	v_cndmask_b32_e32 v14, v4, v8, vcc_lo
.LBB0_6:                                ;   in Loop: Header=BB0_2 Depth=1
	s_or_b32 exec_lo, exec_lo, s0
	v_mul_lo_u32 v4, v15, s24
	v_mul_lo_u32 v9, v14, s25
	s_load_dwordx2 s[0:1], s[6:7], 0x0
	v_mad_u64_u32 v[7:8], null, v14, s24, 0
	s_load_dwordx2 s[24:25], s[2:3], 0x0
	s_add_u32 s22, s22, 1
	s_addc_u32 s23, s23, 0
	s_add_u32 s2, s2, 8
	s_addc_u32 s3, s3, 0
	s_add_u32 s6, s6, 8
	v_add3_u32 v4, v8, v9, v4
	v_sub_co_u32 v5, vcc_lo, v5, v7
	s_addc_u32 s7, s7, 0
	s_add_u32 s20, s20, 8
	v_sub_co_ci_u32_e32 v4, vcc_lo, v6, v4, vcc_lo
	s_addc_u32 s21, s21, 0
	s_waitcnt lgkmcnt(0)
	v_mul_lo_u32 v6, s0, v4
	v_mul_lo_u32 v7, s1, v5
	v_mad_u64_u32 v[1:2], null, s0, v5, v[1:2]
	v_mul_lo_u32 v4, s24, v4
	v_mul_lo_u32 v8, s25, v5
	v_mad_u64_u32 v[12:13], null, s24, v5, v[12:13]
	v_cmp_ge_u64_e64 s0, s[22:23], s[14:15]
	v_add3_u32 v2, v7, v2, v6
	v_add3_u32 v13, v8, v13, v4
	s_and_b32 vcc_lo, exec_lo, s0
	s_cbranch_vccnz .LBB0_9
; %bb.7:                                ;   in Loop: Header=BB0_2 Depth=1
	v_mov_b32_e32 v5, v14
	v_mov_b32_e32 v6, v15
	s_branch .LBB0_2
.LBB0_8:
	v_mov_b32_e32 v13, v2
	v_mov_b32_e32 v15, v6
	;; [unrolled: 1-line block ×4, first 2 shown]
.LBB0_9:
	s_load_dwordx2 s[0:1], s[4:5], 0x28
	v_mul_hi_u32 v3, 0x2492493, v0
	s_lshl_b64 s[4:5], s[14:15], 3
                                        ; implicit-def: $vgpr18
	s_add_u32 s2, s18, s4
	s_addc_u32 s3, s19, s5
	s_waitcnt lgkmcnt(0)
	v_cmp_gt_u64_e32 vcc_lo, s[0:1], v[14:15]
	v_cmp_le_u64_e64 s0, s[0:1], v[14:15]
	s_and_saveexec_b32 s1, s0
	s_xor_b32 s0, exec_lo, s1
; %bb.10:
	v_mul_u32_u24_e32 v1, 0x70, v3
                                        ; implicit-def: $vgpr3
	v_sub_nc_u32_e32 v18, v0, v1
                                        ; implicit-def: $vgpr0
                                        ; implicit-def: $vgpr1_vgpr2
; %bb.11:
	s_or_saveexec_b32 s1, s0
	s_load_dwordx2 s[2:3], s[2:3], 0x0
                                        ; implicit-def: $vgpr6
                                        ; implicit-def: $vgpr16
                                        ; implicit-def: $vgpr8
                                        ; implicit-def: $vgpr24
                                        ; implicit-def: $vgpr7
                                        ; implicit-def: $vgpr19
                                        ; implicit-def: $vgpr11
                                        ; implicit-def: $vgpr27
                                        ; implicit-def: $vgpr10
                                        ; implicit-def: $vgpr20
                                        ; implicit-def: $vgpr26
                                        ; implicit-def: $vgpr28
                                        ; implicit-def: $vgpr9
                                        ; implicit-def: $vgpr21
                                        ; implicit-def: $vgpr35
                                        ; implicit-def: $vgpr29
                                        ; implicit-def: $vgpr17
                                        ; implicit-def: $vgpr22
                                        ; implicit-def: $vgpr38
                                        ; implicit-def: $vgpr30
                                        ; implicit-def: $vgpr37
                                        ; implicit-def: $vgpr23
                                        ; implicit-def: $vgpr40
                                        ; implicit-def: $vgpr31
                                        ; implicit-def: $vgpr39
                                        ; implicit-def: $vgpr25
                                        ; implicit-def: $vgpr41
                                        ; implicit-def: $vgpr32
                                        ; implicit-def: $vgpr4
                                        ; implicit-def: $vgpr33
                                        ; implicit-def: $vgpr5
                                        ; implicit-def: $vgpr34
	s_xor_b32 exec_lo, exec_lo, s1
	s_cbranch_execz .LBB0_15
; %bb.12:
	s_add_u32 s4, s16, s4
	s_addc_u32 s5, s17, s5
	v_lshlrev_b64 v[1:2], 2, v[1:2]
	s_load_dwordx2 s[4:5], s[4:5], 0x0
                                        ; implicit-def: $vgpr34
                                        ; implicit-def: $vgpr33
	s_waitcnt lgkmcnt(0)
	v_mul_lo_u32 v6, s5, v14
	v_mul_lo_u32 v7, s4, v15
	v_mad_u64_u32 v[4:5], null, s4, v14, 0
	s_mov_b32 s4, exec_lo
	v_add3_u32 v5, v5, v7, v6
	v_mul_u32_u24_e32 v6, 0x70, v3
	v_lshlrev_b64 v[3:4], 2, v[4:5]
	v_sub_nc_u32_e32 v18, v0, v6
	v_add_co_u32 v0, s0, s8, v3
	v_add_co_ci_u32_e64 v3, s0, s9, v4, s0
	v_lshlrev_b32_e32 v4, 2, v18
	v_add_co_u32 v0, s0, v0, v1
	v_add_co_ci_u32_e64 v1, s0, v3, v2, s0
	v_add_co_u32 v0, s0, v0, v4
	v_add_co_ci_u32_e64 v1, s0, 0, v1, s0
	;; [unrolled: 2-line block ×4, first 2 shown]
	s_clause 0xd
	global_load_dword v16, v[0:1], off
	global_load_dword v19, v[0:1], off offset:448
	global_load_dword v20, v[0:1], off offset:896
	global_load_dword v21, v[0:1], off offset:1344
	global_load_dword v22, v[0:1], off offset:1792
	global_load_dword v23, v[2:3], off offset:192
	global_load_dword v24, v[2:3], off offset:1312
	global_load_dword v25, v[2:3], off offset:640
	global_load_dword v27, v[2:3], off offset:1760
	global_load_dword v28, v[4:5], off offset:160
	global_load_dword v29, v[4:5], off offset:608
	global_load_dword v30, v[4:5], off offset:1056
	global_load_dword v31, v[4:5], off offset:1504
	global_load_dword v32, v[4:5], off offset:1952
                                        ; implicit-def: $vgpr5
                                        ; implicit-def: $vgpr4
	v_cmpx_gt_u32_e32 56, v18
	s_cbranch_execz .LBB0_14
; %bb.13:
	v_add_co_u32 v0, s0, 0x1800, v0
	v_add_co_ci_u32_e64 v1, s0, 0, v1, s0
	s_clause 0x1
	global_load_dword v33, v[2:3], off offset:1088
	global_load_dword v34, v[0:1], off offset:352
	s_waitcnt vmcnt(1)
	v_lshrrev_b32_e32 v4, 16, v33
	s_waitcnt vmcnt(0)
	v_lshrrev_b32_e32 v5, 16, v34
.LBB0_14:
	s_or_b32 exec_lo, exec_lo, s4
	s_waitcnt vmcnt(13)
	v_lshrrev_b32_e32 v6, 16, v16
	s_waitcnt vmcnt(7)
	v_lshrrev_b32_e32 v8, 16, v24
	v_lshrrev_b32_e32 v7, 16, v19
	s_waitcnt vmcnt(5)
	v_lshrrev_b32_e32 v11, 16, v27
	;; [unrolled: 3-line block ×7, first 2 shown]
.LBB0_15:
	s_or_b32 exec_lo, exec_lo, s1
	v_sub_f16_e32 v2, v16, v24
	v_sub_f16_e32 v3, v19, v27
	v_sub_f16_e32 v24, v20, v28
	v_add_nc_u32_e32 v0, 0x70, v18
	v_sub_f16_e32 v27, v21, v29
	v_fma_f16 v28, v16, 2.0, -v2
	v_fma_f16 v19, v19, 2.0, -v3
	v_lshl_add_u32 v43, v18, 2, 0
	v_fma_f16 v20, v20, 2.0, -v24
	v_sub_f16_e32 v29, v22, v30
	v_pack_b32_f16 v2, v28, v2
	v_add_nc_u32_e32 v1, 0xe0, v18
	v_lshl_add_u32 v47, v0, 2, 0
	v_pack_b32_f16 v19, v19, v3
	v_sub_f16_e32 v30, v23, v31
	v_sub_f16_e32 v31, v25, v32
	v_fma_f16 v32, v21, 2.0, -v27
	v_sub_f16_e32 v16, v33, v34
	v_add_nc_u32_e32 v3, 0x150, v18
	ds_write_b32 v43, v2
	ds_write_b32 v47, v19
	v_add_nc_u32_e32 v2, 0x1c0, v18
	v_add_nc_u32_e32 v44, 0x230, v18
	;; [unrolled: 1-line block ×4, first 2 shown]
	v_fma_f16 v22, v22, 2.0, -v29
	v_lshl_add_u32 v42, v1, 2, 0
	v_pack_b32_f16 v20, v20, v24
	v_fma_f16 v23, v23, 2.0, -v30
	v_fma_f16 v25, v25, 2.0, -v31
	v_fma_f16 v21, v33, 2.0, -v16
	v_lshl_add_u32 v48, v3, 2, 0
	v_pack_b32_f16 v19, v32, v27
	v_lshl_add_u32 v49, v2, 2, 0
	v_lshl_add_u32 v50, v44, 2, 0
	v_lshl_add_u32 v52, v46, 2, 0
	v_cmp_gt_u32_e64 s0, 56, v18
	v_lshl_add_u32 v51, v45, 2, 0
	ds_write_b32 v42, v20
	v_pack_b32_f16 v20, v22, v29
	v_pack_b32_f16 v22, v23, v30
	;; [unrolled: 1-line block ×3, first 2 shown]
	ds_write_b32 v48, v19
	ds_write_b32 v49, v20
	;; [unrolled: 1-line block ×4, first 2 shown]
	s_and_saveexec_b32 s1, s0
	s_cbranch_execz .LBB0_17
; %bb.16:
	v_perm_b32 v19, v16, v21, 0x5040100
	ds_write_b32 v51, v19
.LBB0_17:
	s_or_b32 exec_lo, exec_lo, s1
	v_lshl_add_u32 v19, v18, 1, 0
	s_waitcnt lgkmcnt(0)
	s_barrier
	buffer_gl0_inv
	ds_read_u16 v23, v19
	ds_read_u16 v25, v19 offset:224
	ds_read_u16 v28, v19 offset:448
	;; [unrolled: 1-line block ×13, first 2 shown]
	s_and_saveexec_b32 s1, s0
	s_cbranch_execz .LBB0_19
; %bb.18:
	ds_read_u16 v21, v19 offset:1568
	ds_read_u16 v16, v19 offset:3248
.LBB0_19:
	s_or_b32 exec_lo, exec_lo, s1
	v_sub_f16_e32 v8, v6, v8
	v_sub_f16_e32 v11, v7, v11
	;; [unrolled: 1-line block ×5, first 2 shown]
	v_fma_f16 v6, v6, 2.0, -v8
	v_fma_f16 v7, v7, 2.0, -v11
	v_sub_f16_e32 v38, v17, v38
	v_sub_f16_e32 v40, v37, v40
	;; [unrolled: 1-line block ×3, first 2 shown]
	v_fma_f16 v10, v10, 2.0, -v53
	v_fma_f16 v26, v4, 2.0, -v35
	v_pack_b32_f16 v4, v6, v8
	v_fma_f16 v5, v9, 2.0, -v54
	v_pack_b32_f16 v6, v7, v11
	v_fma_f16 v9, v17, 2.0, -v38
	v_fma_f16 v17, v37, 2.0, -v40
	;; [unrolled: 1-line block ×3, first 2 shown]
	s_waitcnt lgkmcnt(0)
	s_barrier
	buffer_gl0_inv
	ds_write_b32 v43, v4
	ds_write_b32 v47, v6
	v_pack_b32_f16 v4, v10, v53
	v_pack_b32_f16 v5, v5, v54
	;; [unrolled: 1-line block ×5, first 2 shown]
	ds_write_b32 v42, v4
	ds_write_b32 v48, v5
	ds_write_b32 v49, v6
	ds_write_b32 v50, v7
	ds_write_b32 v52, v8
	s_and_saveexec_b32 s1, s0
	s_cbranch_execz .LBB0_21
; %bb.20:
	v_perm_b32 v4, v35, v26, 0x5040100
	ds_write_b32 v51, v4
.LBB0_21:
	s_or_b32 exec_lo, exec_lo, s1
	s_waitcnt lgkmcnt(0)
	s_barrier
	buffer_gl0_inv
	ds_read_u16 v37, v19
	ds_read_u16 v42, v19 offset:224
	ds_read_u16 v43, v19 offset:448
	;; [unrolled: 1-line block ×13, first 2 shown]
	v_lshlrev_b32_e32 v11, 1, v18
	v_lshlrev_b32_e32 v10, 1, v0
	;; [unrolled: 1-line block ×7, first 2 shown]
	s_and_saveexec_b32 s1, s0
	s_cbranch_execz .LBB0_23
; %bb.22:
	ds_read_u16 v26, v19 offset:1568
	ds_read_u16 v35, v19 offset:3248
.LBB0_23:
	s_or_b32 exec_lo, exec_lo, s1
	v_and_b32_e32 v44, 1, v18
	v_lshlrev_b32_e32 v4, 2, v44
	v_and_or_b32 v17, 0xfc, v11, v44
	v_and_or_b32 v50, 0x7fc, v5, v44
	;; [unrolled: 1-line block ×4, first 2 shown]
	global_load_dword v59, v4, s[12:13]
	v_lshlrev_b32_e32 v4, 1, v45
	v_and_or_b32 v45, 0x1fc, v10, v44
	v_and_or_b32 v48, 0x7fc, v7, v44
	;; [unrolled: 1-line block ×3, first 2 shown]
	v_lshl_add_u32 v66, v17, 1, 0
	v_lshl_add_u32 v60, v50, 1, 0
	;; [unrolled: 1-line block ×7, first 2 shown]
	s_waitcnt vmcnt(0) lgkmcnt(0)
	s_barrier
	buffer_gl0_inv
	v_mul_f16_sdwa v17, v58, v59 dst_sel:DWORD dst_unused:UNUSED_PAD src0_sel:DWORD src1_sel:WORD_1
	v_mul_f16_sdwa v50, v52, v59 dst_sel:DWORD dst_unused:UNUSED_PAD src0_sel:DWORD src1_sel:WORD_1
	;; [unrolled: 1-line block ×8, first 2 shown]
	v_fma_f16 v17, v31, v59, -v17
	v_fma_f16 v50, v20, v59, -v50
	;; [unrolled: 1-line block ×8, first 2 shown]
	v_sub_f16_e32 v67, v23, v17
	v_sub_f16_e32 v50, v36, v50
	;; [unrolled: 1-line block ×8, first 2 shown]
	v_fma_f16 v51, v36, 2.0, -v50
	v_fma_f16 v36, v21, 2.0, -v17
	;; [unrolled: 1-line block ×8, first 2 shown]
	ds_write_b16 v66, v67 offset:4
	ds_write_b16 v66, v23
	ds_write_b16 v65, v25
	ds_write_b16 v65, v45 offset:4
	ds_write_b16 v64, v28
	ds_write_b16 v64, v46 offset:4
	;; [unrolled: 2-line block ×6, first 2 shown]
	s_and_saveexec_b32 s1, s0
	s_cbranch_execz .LBB0_25
; %bb.24:
	v_and_or_b32 v21, 0x6fc, v4, v44
	v_lshl_add_u32 v21, v21, 1, 0
	ds_write_b16 v21, v36
	ds_write_b16 v21, v17 offset:4
.LBB0_25:
	s_or_b32 exec_lo, exec_lo, s1
	s_waitcnt lgkmcnt(0)
	s_barrier
	buffer_gl0_inv
	ds_read_u16 v45, v19
	ds_read_u16 v46, v19 offset:224
	ds_read_u16 v47, v19 offset:448
	ds_read_u16 v48, v19 offset:672
	ds_read_u16 v49, v19 offset:896
	ds_read_u16 v50, v19 offset:1120
	ds_read_u16 v33, v19 offset:1680
	ds_read_u16 v51, v19 offset:1344
	ds_read_u16 v34, v19 offset:1904
	ds_read_u16 v30, v19 offset:2128
	ds_read_u16 v28, v19 offset:2352
	ds_read_u16 v25, v19 offset:2576
	ds_read_u16 v23, v19 offset:2800
	ds_read_u16 v21, v19 offset:3024
	s_and_saveexec_b32 s1, s0
	s_cbranch_execz .LBB0_27
; %bb.26:
	ds_read_u16 v36, v19 offset:1568
	ds_read_u16 v17, v19 offset:3248
.LBB0_27:
	s_or_b32 exec_lo, exec_lo, s1
	v_mul_f16_sdwa v31, v31, v59 dst_sel:DWORD dst_unused:UNUSED_PAD src0_sel:DWORD src1_sel:WORD_1
	v_mul_f16_sdwa v16, v16, v59 dst_sel:DWORD dst_unused:UNUSED_PAD src0_sel:DWORD src1_sel:WORD_1
	v_mul_f16_sdwa v32, v32, v59 dst_sel:DWORD dst_unused:UNUSED_PAD src0_sel:DWORD src1_sel:WORD_1
	v_mul_f16_sdwa v29, v29, v59 dst_sel:DWORD dst_unused:UNUSED_PAD src0_sel:DWORD src1_sel:WORD_1
	v_mul_f16_sdwa v27, v27, v59 dst_sel:DWORD dst_unused:UNUSED_PAD src0_sel:DWORD src1_sel:WORD_1
	v_fmac_f16_e32 v31, v58, v59
	v_mul_f16_sdwa v24, v24, v59 dst_sel:DWORD dst_unused:UNUSED_PAD src0_sel:DWORD src1_sel:WORD_1
	v_mul_f16_sdwa v22, v22, v59 dst_sel:DWORD dst_unused:UNUSED_PAD src0_sel:DWORD src1_sel:WORD_1
	;; [unrolled: 1-line block ×3, first 2 shown]
	v_fmac_f16_e32 v16, v35, v59
	v_sub_f16_e32 v31, v37, v31
	v_fmac_f16_e32 v32, v54, v59
	v_fmac_f16_e32 v29, v55, v59
	;; [unrolled: 1-line block ×6, first 2 shown]
	v_fma_f16 v35, v37, 2.0, -v31
	v_sub_f16_e32 v37, v26, v16
	v_sub_f16_e32 v32, v42, v32
	;; [unrolled: 1-line block ×7, first 2 shown]
	v_fma_f16 v24, v26, 2.0, -v37
	v_fma_f16 v42, v42, 2.0, -v32
	;; [unrolled: 1-line block ×7, first 2 shown]
	s_waitcnt lgkmcnt(0)
	s_barrier
	buffer_gl0_inv
	ds_write_b16 v66, v35
	ds_write_b16 v66, v31 offset:4
	ds_write_b16 v65, v42
	ds_write_b16 v65, v32 offset:4
	ds_write_b16 v64, v43
	ds_write_b16 v64, v29 offset:4
	ds_write_b16 v63, v16
	ds_write_b16 v63, v27 offset:4
	ds_write_b16 v62, v38
	ds_write_b16 v62, v52 offset:4
	ds_write_b16 v61, v39
	ds_write_b16 v61, v22 offset:4
	ds_write_b16 v60, v40
	ds_write_b16 v60, v20 offset:4
	s_and_saveexec_b32 s1, s0
	s_cbranch_execz .LBB0_29
; %bb.28:
	v_and_or_b32 v16, 0x6fc, v4, v44
	v_lshl_add_u32 v16, v16, 1, 0
	ds_write_b16 v16, v24
	ds_write_b16 v16, v37 offset:4
.LBB0_29:
	s_or_b32 exec_lo, exec_lo, s1
	s_waitcnt lgkmcnt(0)
	s_barrier
	buffer_gl0_inv
	ds_read_u16 v55, v19
	ds_read_u16 v56, v19 offset:224
	ds_read_u16 v57, v19 offset:448
	;; [unrolled: 1-line block ×13, first 2 shown]
	s_and_saveexec_b32 s1, s0
	s_cbranch_execz .LBB0_31
; %bb.30:
	ds_read_u16 v24, v19 offset:1568
	ds_read_u16 v37, v19 offset:3248
.LBB0_31:
	s_or_b32 exec_lo, exec_lo, s1
	v_and_b32_e32 v53, 3, v18
	v_lshlrev_b32_e32 v16, 2, v53
	v_and_or_b32 v20, 0x1f8, v10, v53
	v_and_or_b32 v22, 0x3f8, v9, v53
	;; [unrolled: 1-line block ×4, first 2 shown]
	global_load_dword v65, v16, s[12:13] offset:8
	v_and_or_b32 v16, 0xf8, v11, v53
	v_and_or_b32 v29, 0x5f8, v6, v53
	;; [unrolled: 1-line block ×3, first 2 shown]
	v_lshl_add_u32 v71, v20, 1, 0
	v_lshl_add_u32 v70, v22, 1, 0
	;; [unrolled: 1-line block ×7, first 2 shown]
	s_waitcnt vmcnt(0) lgkmcnt(0)
	s_barrier
	buffer_gl0_inv
	v_mul_f16_sdwa v16, v64, v65 dst_sel:DWORD dst_unused:UNUSED_PAD src0_sel:DWORD src1_sel:WORD_1
	v_mul_f16_sdwa v32, v37, v65 dst_sel:DWORD dst_unused:UNUSED_PAD src0_sel:DWORD src1_sel:WORD_1
	;; [unrolled: 1-line block ×8, first 2 shown]
	v_fma_f16 v16, v33, v65, -v16
	v_fma_f16 v32, v17, v65, -v32
	;; [unrolled: 1-line block ×8, first 2 shown]
	v_sub_f16_e32 v35, v45, v16
	v_sub_f16_e32 v16, v36, v32
	;; [unrolled: 1-line block ×8, first 2 shown]
	v_fma_f16 v20, v36, 2.0, -v16
	v_fma_f16 v32, v45, 2.0, -v35
	;; [unrolled: 1-line block ×8, first 2 shown]
	ds_write_b16 v72, v35 offset:8
	ds_write_b16 v72, v32
	ds_write_b16 v71, v39
	ds_write_b16 v71, v38 offset:8
	ds_write_b16 v70, v40
	ds_write_b16 v70, v22 offset:8
	;; [unrolled: 2-line block ×6, first 2 shown]
	s_and_saveexec_b32 s1, s0
	s_cbranch_execz .LBB0_33
; %bb.32:
	v_and_or_b32 v22, 0x6f8, v4, v53
	v_lshl_add_u32 v22, v22, 1, 0
	ds_write_b16 v22, v20
	ds_write_b16 v22, v16 offset:8
.LBB0_33:
	s_or_b32 exec_lo, exec_lo, s1
	s_waitcnt lgkmcnt(0)
	s_barrier
	buffer_gl0_inv
	ds_read_u16 v36, v19
	ds_read_u16 v38, v19 offset:224
	ds_read_u16 v39, v19 offset:448
	;; [unrolled: 1-line block ×13, first 2 shown]
	s_and_saveexec_b32 s1, s0
	s_cbranch_execz .LBB0_35
; %bb.34:
	ds_read_u16 v20, v19 offset:1568
	ds_read_u16 v16, v19 offset:3248
.LBB0_35:
	s_or_b32 exec_lo, exec_lo, s1
	v_mul_f16_sdwa v33, v33, v65 dst_sel:DWORD dst_unused:UNUSED_PAD src0_sel:DWORD src1_sel:WORD_1
	v_mul_f16_sdwa v21, v21, v65 dst_sel:DWORD dst_unused:UNUSED_PAD src0_sel:DWORD src1_sel:WORD_1
	;; [unrolled: 1-line block ×7, first 2 shown]
	v_fmac_f16_e32 v33, v64, v65
	v_mul_f16_sdwa v23, v23, v65 dst_sel:DWORD dst_unused:UNUSED_PAD src0_sel:DWORD src1_sel:WORD_1
	v_fmac_f16_e32 v21, v58, v65
	v_fmac_f16_e32 v17, v37, v65
	;; [unrolled: 1-line block ×7, first 2 shown]
	v_sub_f16_e32 v33, v55, v33
	v_sub_f16_e32 v48, v54, v21
	;; [unrolled: 1-line block ×5, first 2 shown]
	v_fma_f16 v37, v55, 2.0, -v33
	v_sub_f16_e32 v28, v42, v28
	v_sub_f16_e32 v25, v44, v25
	;; [unrolled: 1-line block ×3, first 2 shown]
	v_fma_f16 v17, v24, 2.0, -v21
	v_fma_f16 v46, v56, 2.0, -v34
	;; [unrolled: 1-line block ×7, first 2 shown]
	s_waitcnt lgkmcnt(0)
	s_barrier
	buffer_gl0_inv
	ds_write_b16 v72, v37
	ds_write_b16 v72, v33 offset:8
	ds_write_b16 v71, v46
	ds_write_b16 v71, v34 offset:8
	;; [unrolled: 2-line block ×7, first 2 shown]
	s_and_saveexec_b32 s1, s0
	s_cbranch_execz .LBB0_37
; %bb.36:
	v_and_or_b32 v23, 0x6f8, v4, v53
	v_lshl_add_u32 v23, v23, 1, 0
	ds_write_b16 v23, v17
	ds_write_b16 v23, v21 offset:8
.LBB0_37:
	s_or_b32 exec_lo, exec_lo, s1
	s_waitcnt lgkmcnt(0)
	s_barrier
	buffer_gl0_inv
	ds_read_u16 v37, v19
	ds_read_u16 v23, v19 offset:224
	ds_read_u16 v24, v19 offset:448
	;; [unrolled: 1-line block ×13, first 2 shown]
	s_and_saveexec_b32 s1, s0
	s_cbranch_execz .LBB0_39
; %bb.38:
	ds_read_u16 v17, v19 offset:1568
	ds_read_u16 v21, v19 offset:3248
.LBB0_39:
	s_or_b32 exec_lo, exec_lo, s1
	v_and_b32_e32 v30, 7, v18
	v_lshlrev_b32_e32 v51, 2, v30
	v_and_or_b32 v5, 0x7f0, v5, v30
	v_and_or_b32 v6, 0x5f0, v6, v30
	;; [unrolled: 1-line block ×4, first 2 shown]
	global_load_dword v51, v51, s[12:13] offset:24
	v_and_or_b32 v10, 0x1f0, v10, v30
	v_and_or_b32 v9, 0x3f0, v9, v30
	;; [unrolled: 1-line block ×3, first 2 shown]
	v_lshl_add_u32 v52, v5, 1, 0
	v_lshl_add_u32 v53, v6, 1, 0
	;; [unrolled: 1-line block ×7, first 2 shown]
	s_waitcnt vmcnt(0) lgkmcnt(0)
	s_barrier
	buffer_gl0_inv
	v_mul_f16_sdwa v5, v47, v51 dst_sel:DWORD dst_unused:UNUSED_PAD src0_sel:DWORD src1_sel:WORD_1
	v_mul_f16_sdwa v6, v49, v51 dst_sel:DWORD dst_unused:UNUSED_PAD src0_sel:DWORD src1_sel:WORD_1
	;; [unrolled: 1-line block ×8, first 2 shown]
	v_fma_f16 v5, v32, v51, -v5
	v_fma_f16 v6, v35, v51, -v6
	;; [unrolled: 1-line block ×8, first 2 shown]
	v_sub_f16_e32 v5, v36, v5
	v_sub_f16_e32 v60, v38, v6
	;; [unrolled: 1-line block ×8, first 2 shown]
	v_fma_f16 v36, v36, 2.0, -v5
	v_fma_f16 v38, v38, 2.0, -v60
	;; [unrolled: 1-line block ×7, first 2 shown]
	ds_write_b16 v58, v5 offset:16
	ds_write_b16 v58, v36
	ds_write_b16 v57, v38
	ds_write_b16 v57, v60 offset:16
	ds_write_b16 v56, v39
	ds_write_b16 v56, v7 offset:16
	;; [unrolled: 2-line block ×6, first 2 shown]
	s_and_saveexec_b32 s1, s0
	s_cbranch_execz .LBB0_41
; %bb.40:
	v_and_or_b32 v5, 0x6f0, v4, v30
	v_fma_f16 v7, v20, 2.0, -v6
	v_lshl_add_u32 v5, v5, 1, 0
	ds_write_b16 v5, v7
	ds_write_b16 v5, v6 offset:16
.LBB0_41:
	s_or_b32 exec_lo, exec_lo, s1
	v_mul_f16_sdwa v5, v32, v51 dst_sel:DWORD dst_unused:UNUSED_PAD src0_sel:DWORD src1_sel:WORD_1
	v_mul_f16_sdwa v7, v35, v51 dst_sel:DWORD dst_unused:UNUSED_PAD src0_sel:DWORD src1_sel:WORD_1
	;; [unrolled: 1-line block ×5, first 2 shown]
	v_fmac_f16_e32 v5, v47, v51
	v_fmac_f16_e32 v7, v49, v51
	;; [unrolled: 1-line block ×4, first 2 shown]
	v_mul_f16_sdwa v11, v26, v51 dst_sel:DWORD dst_unused:UNUSED_PAD src0_sel:DWORD src1_sel:WORD_1
	v_mul_f16_sdwa v20, v22, v51 dst_sel:DWORD dst_unused:UNUSED_PAD src0_sel:DWORD src1_sel:WORD_1
	v_sub_f16_e32 v31, v37, v5
	v_fmac_f16_e32 v10, v42, v51
	v_mul_f16_sdwa v29, v16, v51 dst_sel:DWORD dst_unused:UNUSED_PAD src0_sel:DWORD src1_sel:WORD_1
	v_fmac_f16_e32 v11, v44, v51
	v_fmac_f16_e32 v20, v46, v51
	v_fma_f16 v32, v37, 2.0, -v31
	v_sub_f16_e32 v35, v23, v7
	v_sub_f16_e32 v36, v24, v8
	;; [unrolled: 1-line block ×4, first 2 shown]
	v_fmac_f16_e32 v29, v21, v51
	v_sub_f16_e32 v39, v34, v11
	v_fma_f16 v40, v23, 2.0, -v35
	v_fma_f16 v41, v24, 2.0, -v36
	;; [unrolled: 1-line block ×4, first 2 shown]
	v_sub_f16_e32 v44, v33, v20
	s_waitcnt lgkmcnt(0)
	s_barrier
	buffer_gl0_inv
	ds_read_u16 v20, v19 offset:1344
	ds_read_u16 v16, v19 offset:1568
	ds_read_u16 v11, v19
	ds_read_u16 v10, v19 offset:224
	ds_read_u16 v9, v19 offset:448
	;; [unrolled: 1-line block ×12, first 2 shown]
	v_sub_f16_e32 v7, v17, v29
	v_fma_f16 v34, v34, 2.0, -v39
	v_fma_f16 v33, v33, 2.0, -v44
	s_waitcnt lgkmcnt(0)
	s_barrier
	buffer_gl0_inv
	ds_write_b16 v58, v32
	ds_write_b16 v58, v31 offset:16
	ds_write_b16 v57, v40
	ds_write_b16 v57, v35 offset:16
	;; [unrolled: 2-line block ×7, first 2 shown]
	s_and_saveexec_b32 s1, s0
	s_cbranch_execz .LBB0_43
; %bb.42:
	v_and_or_b32 v4, 0x6f0, v4, v30
	v_fma_f16 v17, v17, 2.0, -v7
	v_lshl_add_u32 v4, v4, 1, 0
	ds_write_b16 v4, v17
	ds_write_b16 v4, v7 offset:16
.LBB0_43:
	s_or_b32 exec_lo, exec_lo, s1
	v_and_b32_e32 v17, 15, v18
	s_waitcnt lgkmcnt(0)
	s_barrier
	buffer_gl0_inv
	v_lshrrev_b32_e32 v37, 4, v18
	v_lshlrev_b32_e32 v4, 3, v17
	v_lshrrev_b32_e32 v38, 4, v0
	v_lshrrev_b32_e32 v39, 4, v1
	;; [unrolled: 1-line block ×4, first 2 shown]
	global_load_dwordx2 v[29:30], v4, s[12:13] offset:56
	ds_read_u16 v31, v19 offset:1344
	ds_read_u16 v32, v19 offset:1568
	ds_read_u16 v36, v19
	ds_read_u16 v35, v19 offset:224
	ds_read_u16 v34, v19 offset:448
	;; [unrolled: 1-line block ×12, first 2 shown]
	v_mul_u32_u24_e32 v37, 48, v37
	v_mul_u32_u24_e32 v38, 48, v38
	;; [unrolled: 1-line block ×5, first 2 shown]
	v_or_b32_e32 v37, v37, v17
	v_or_b32_e32 v38, v38, v17
	;; [unrolled: 1-line block ×5, first 2 shown]
	v_lshl_add_u32 v39, v37, 1, 0
	v_lshl_add_u32 v38, v38, 1, 0
	;; [unrolled: 1-line block ×3, first 2 shown]
	s_waitcnt vmcnt(0) lgkmcnt(0)
	s_barrier
	buffer_gl0_inv
	v_lshl_add_u32 v3, v3, 1, 0
	v_lshl_add_u32 v2, v2, 1, 0
	v_cmp_gt_u32_e64 s0, 16, v18
	v_mul_f16_sdwa v17, v45, v29 dst_sel:DWORD dst_unused:UNUSED_PAD src0_sel:DWORD src1_sel:WORD_1
	v_mul_f16_sdwa v54, v53, v30 dst_sel:DWORD dst_unused:UNUSED_PAD src0_sel:DWORD src1_sel:WORD_1
	;; [unrolled: 1-line block ×15, first 2 shown]
	v_fma_f16 v58, v27, v29, -v17
	v_fma_f16 v59, v28, v30, -v54
	v_mul_f16_sdwa v52, v20, v29 dst_sel:DWORD dst_unused:UNUSED_PAD src0_sel:DWORD src1_sel:WORD_1
	v_mul_f16_sdwa v51, v16, v29 dst_sel:DWORD dst_unused:UNUSED_PAD src0_sel:DWORD src1_sel:WORD_1
	;; [unrolled: 1-line block ×5, first 2 shown]
	v_fmac_f16_e32 v56, v45, v29
	v_fmac_f16_e32 v50, v53, v30
	v_fma_f16 v54, v20, v29, -v55
	v_fma_f16 v57, v26, v30, -v57
	v_fmac_f16_e32 v47, v48, v30
	v_fma_f16 v53, v16, v29, -v63
	v_fma_f16 v55, v25, v30, -v64
	v_fmac_f16_e32 v44, v49, v30
	v_fma_f16 v45, v21, v29, -v65
	v_fmac_f16_e32 v42, v46, v29
	v_fma_f16 v48, v23, v30, -v66
	v_fma_f16 v46, v24, v29, -v67
	;; [unrolled: 1-line block ×3, first 2 shown]
	v_add_f16_e32 v17, v58, v59
	v_fmac_f16_e32 v52, v31, v29
	v_fmac_f16_e32 v51, v32, v29
	v_fmac_f16_e32 v40, v60, v30
	v_fmac_f16_e32 v43, v62, v29
	v_fmac_f16_e32 v41, v61, v30
	v_add_f16_e32 v22, v54, v57
	v_add_f16_e32 v25, v53, v55
	;; [unrolled: 1-line block ×5, first 2 shown]
	v_sub_f16_e32 v20, v56, v50
	v_fmac_f16_e32 v11, -0.5, v17
	v_add_f16_e32 v21, v10, v54
	v_sub_f16_e32 v23, v52, v47
	v_add_f16_e32 v24, v9, v53
	v_sub_f16_e32 v26, v51, v44
	;; [unrolled: 2-line block ×4, first 2 shown]
	v_fmac_f16_e32 v10, -0.5, v22
	v_fmac_f16_e32 v9, -0.5, v25
	;; [unrolled: 1-line block ×4, first 2 shown]
	v_add_f16_e32 v16, v16, v59
	v_fmamk_f16 v25, v20, 0x3aee, v11
	v_fmac_f16_e32 v11, 0xbaee, v20
	v_add_f16_e32 v17, v21, v57
	v_add_f16_e32 v21, v24, v55
	;; [unrolled: 1-line block ×4, first 2 shown]
	v_fmamk_f16 v20, v23, 0x3aee, v10
	v_fmac_f16_e32 v10, 0xbaee, v23
	v_fmamk_f16 v23, v26, 0x3aee, v9
	v_fmac_f16_e32 v9, 0xbaee, v26
	;; [unrolled: 2-line block ×4, first 2 shown]
	ds_write_b16 v39, v16
	ds_write_b16 v39, v25 offset:32
	ds_write_b16 v39, v11 offset:64
	ds_write_b16 v38, v17
	ds_write_b16 v38, v20 offset:32
	ds_write_b16 v38, v10 offset:64
	;; [unrolled: 3-line block ×5, first 2 shown]
	s_waitcnt lgkmcnt(0)
	s_barrier
	buffer_gl0_inv
	ds_read_u16 v8, v19
	ds_read_u16 v26, v19 offset:1920
	ds_read_u16 v20, v19 offset:1664
	;; [unrolled: 1-line block ×13, first 2 shown]
                                        ; implicit-def: $vgpr16
                                        ; implicit-def: $vgpr11
                                        ; implicit-def: $vgpr10
                                        ; implicit-def: $vgpr17
                                        ; implicit-def: $vgpr21
	s_and_saveexec_b32 s1, s0
	s_cbranch_execz .LBB0_45
; %bb.44:
	ds_read_u16 v5, v19 offset:448
	ds_read_u16 v6, v19 offset:928
	;; [unrolled: 1-line block ×7, first 2 shown]
.LBB0_45:
	s_or_b32 exec_lo, exec_lo, s1
	v_add_f16_e32 v60, v56, v50
	v_add_f16_e32 v56, v36, v56
	v_sub_f16_e32 v58, v58, v59
	v_add_f16_e32 v59, v52, v47
	v_add_f16_e32 v52, v35, v52
	v_fmac_f16_e32 v36, -0.5, v60
	v_add_f16_e32 v60, v51, v44
	v_sub_f16_e32 v54, v54, v57
	v_fmac_f16_e32 v35, -0.5, v59
	v_add_f16_e32 v47, v52, v47
	v_add_f16_e32 v51, v34, v51
	v_fmac_f16_e32 v34, -0.5, v60
	v_sub_f16_e32 v52, v53, v55
	v_fmamk_f16 v53, v54, 0xbaee, v35
	v_fmac_f16_e32 v35, 0x3aee, v54
	v_add_f16_e32 v44, v51, v44
	v_add_f16_e32 v51, v42, v40
	v_fmamk_f16 v54, v52, 0xbaee, v34
	v_fmac_f16_e32 v34, 0x3aee, v52
	v_add_f16_e32 v52, v43, v41
	v_add_f16_e32 v42, v33, v42
	v_fmac_f16_e32 v33, -0.5, v51
	v_sub_f16_e32 v45, v45, v48
	v_add_f16_e32 v43, v4, v43
	v_fmac_f16_e32 v4, -0.5, v52
	v_sub_f16_e32 v46, v46, v49
	v_add_f16_e32 v50, v56, v50
	v_fmamk_f16 v56, v58, 0xbaee, v36
	v_fmac_f16_e32 v36, 0x3aee, v58
	v_add_f16_e32 v40, v42, v40
	v_fmamk_f16 v42, v45, 0xbaee, v33
	v_add_f16_e32 v41, v43, v41
	v_fmamk_f16 v43, v46, 0xbaee, v4
	v_fmac_f16_e32 v33, 0x3aee, v45
	v_fmac_f16_e32 v4, 0x3aee, v46
	s_waitcnt lgkmcnt(0)
	s_barrier
	buffer_gl0_inv
	ds_write_b16 v39, v50
	ds_write_b16 v39, v56 offset:32
	ds_write_b16 v39, v36 offset:64
	ds_write_b16 v38, v47
	ds_write_b16 v38, v53 offset:32
	ds_write_b16 v38, v35 offset:64
	;; [unrolled: 3-line block ×5, first 2 shown]
	s_waitcnt lgkmcnt(0)
	s_barrier
	buffer_gl0_inv
	ds_read_u16 v3, v19
	ds_read_u16 v46, v19 offset:1920
	ds_read_u16 v40, v19 offset:1664
	ds_read_u16 v50, v19 offset:1440
	ds_read_u16 v43, v19 offset:1184
	ds_read_u16 v51, v19 offset:960
	ds_read_u16 v45, v19 offset:704
	ds_read_u16 v52, v19 offset:480
	ds_read_u16 v2, v19 offset:224
	ds_read_u16 v42, v19 offset:3104
	ds_read_u16 v48, v19 offset:2880
	ds_read_u16 v44, v19 offset:2624
	ds_read_u16 v49, v19 offset:2400
	ds_read_u16 v47, v19 offset:2144
                                        ; implicit-def: $vgpr38
                                        ; implicit-def: $vgpr34
                                        ; implicit-def: $vgpr33
                                        ; implicit-def: $vgpr39
                                        ; implicit-def: $vgpr41
	s_and_saveexec_b32 s1, s0
	s_cbranch_execz .LBB0_47
; %bb.46:
	ds_read_u16 v4, v19 offset:448
	ds_read_u16 v7, v19 offset:928
	;; [unrolled: 1-line block ×7, first 2 shown]
.LBB0_47:
	s_or_b32 exec_lo, exec_lo, s1
	v_and_b32_e32 v35, 0xff, v18
	v_and_b32_e32 v36, 0xff, v0
	v_mov_b32_e32 v53, 6
	v_mov_b32_e32 v56, 0xaaab
	v_mul_lo_u16 v35, 0xab, v35
	v_mul_lo_u16 v36, 0xab, v36
	v_lshrrev_b16 v35, 13, v35
	v_lshrrev_b16 v36, 13, v36
	v_mul_lo_u16 v37, v35, 48
	v_mul_lo_u16 v55, v36, 48
	v_sub_nc_u16 v37, v18, v37
	v_sub_nc_u16 v55, v0, v55
	v_mul_u32_u24_sdwa v54, v37, v53 dst_sel:DWORD dst_unused:UNUSED_PAD src0_sel:BYTE_0 src1_sel:DWORD
	v_mul_u32_u24_sdwa v53, v55, v53 dst_sel:DWORD dst_unused:UNUSED_PAD src0_sel:BYTE_0 src1_sel:DWORD
	v_lshlrev_b32_e32 v54, 2, v54
	v_lshlrev_b32_e32 v53, 2, v53
	s_clause 0x2
	global_load_dwordx4 v[61:64], v54, s[12:13] offset:184
	global_load_dwordx2 v[73:74], v54, s[12:13] offset:200
	global_load_dwordx4 v[65:68], v53, s[12:13] offset:184
	v_mul_u32_u24_sdwa v54, v1, v56 dst_sel:DWORD dst_unused:UNUSED_PAD src0_sel:WORD_0 src1_sel:DWORD
	global_load_dwordx2 v[75:76], v53, s[12:13] offset:200
	v_mov_b32_e32 v56, 1
	v_lshrrev_b32_e32 v54, 21, v54
	v_lshlrev_b32_sdwa v37, v56, v37 dst_sel:DWORD dst_unused:UNUSED_PAD src0_sel:DWORD src1_sel:BYTE_0
	v_mul_lo_u16 v54, v54, 48
	v_sub_nc_u16 v53, v1, v54
	v_and_b32_e32 v53, 0xffff, v53
	v_mul_u32_u24_e32 v54, 6, v53
	v_lshlrev_b32_e32 v54, 2, v54
	s_clause 0x1
	global_load_dwordx4 v[69:72], v54, s[12:13] offset:184
	global_load_dwordx2 v[77:78], v54, s[12:13] offset:200
	v_mov_b32_e32 v54, 0x2a0
	s_waitcnt vmcnt(0) lgkmcnt(0)
	s_barrier
	buffer_gl0_inv
	v_mul_u32_u24_sdwa v35, v35, v54 dst_sel:DWORD dst_unused:UNUSED_PAD src0_sel:WORD_0 src1_sel:DWORD
	v_mul_u32_u24_sdwa v36, v36, v54 dst_sel:DWORD dst_unused:UNUSED_PAD src0_sel:WORD_0 src1_sel:DWORD
	v_lshlrev_b32_sdwa v54, v56, v55 dst_sel:DWORD dst_unused:UNUSED_PAD src0_sel:DWORD src1_sel:BYTE_0
	v_add3_u32 v37, 0, v35, v37
	v_lshl_add_u32 v35, v53, 1, 0
	v_add3_u32 v36, 0, v36, v54
	v_mul_f16_sdwa v82, v49, v73 dst_sel:DWORD dst_unused:UNUSED_PAD src0_sel:DWORD src1_sel:WORD_1
	v_mul_f16_sdwa v56, v31, v62 dst_sel:DWORD dst_unused:UNUSED_PAD src0_sel:DWORD src1_sel:WORD_1
	;; [unrolled: 1-line block ×11, first 2 shown]
	v_fmac_f16_e32 v56, v51, v62
	v_fma_f16 v51, v30, v63, -v80
	v_fmac_f16_e32 v54, v50, v63
	v_mul_f16_sdwa v30, v27, v68 dst_sel:DWORD dst_unused:UNUSED_PAD src0_sel:DWORD src1_sel:WORD_1
	v_mul_f16_sdwa v63, v44, v75 dst_sel:DWORD dst_unused:UNUSED_PAD src0_sel:DWORD src1_sel:WORD_1
	v_fmac_f16_e32 v57, v46, v64
	v_mul_f16_sdwa v46, v42, v76 dst_sel:DWORD dst_unused:UNUSED_PAD src0_sel:DWORD src1_sel:WORD_1
	v_mul_f16_sdwa v58, v29, v73 dst_sel:DWORD dst_unused:UNUSED_PAD src0_sel:DWORD src1_sel:WORD_1
	;; [unrolled: 1-line block ×4, first 2 shown]
	v_fma_f16 v60, v32, v61, -v60
	v_mul_f16_sdwa v85, v43, v66 dst_sel:DWORD dst_unused:UNUSED_PAD src0_sel:DWORD src1_sel:WORD_1
	v_fmac_f16_e32 v55, v52, v61
	v_mul_f16_sdwa v32, v23, v66 dst_sel:DWORD dst_unused:UNUSED_PAD src0_sel:DWORD src1_sel:WORD_1
	v_fma_f16 v52, v31, v62, -v79
	v_mul_f16_sdwa v31, v20, v67 dst_sel:DWORD dst_unused:UNUSED_PAD src0_sel:DWORD src1_sel:WORD_1
	v_mul_f16_sdwa v62, v47, v68 dst_sel:DWORD dst_unused:UNUSED_PAD src0_sel:DWORD src1_sel:WORD_1
	v_fma_f16 v61, v26, v64, -v81
	v_mul_f16_sdwa v26, v24, v75 dst_sel:DWORD dst_unused:UNUSED_PAD src0_sel:DWORD src1_sel:WORD_1
	v_mul_f16_sdwa v50, v22, v76 dst_sel:DWORD dst_unused:UNUSED_PAD src0_sel:DWORD src1_sel:WORD_1
	v_fma_f16 v29, v29, v73, -v82
	v_fma_f16 v28, v28, v74, -v83
	v_fmac_f16_e32 v59, v48, v74
	v_fmac_f16_e32 v30, v47, v68
	v_fma_f16 v24, v24, v75, -v63
	v_fma_f16 v22, v22, v76, -v46
	v_mul_f16_sdwa v46, v7, v69 dst_sel:DWORD dst_unused:UNUSED_PAD src0_sel:DWORD src1_sel:WORD_1
	v_mul_f16_sdwa v48, v38, v70 dst_sel:DWORD dst_unused:UNUSED_PAD src0_sel:DWORD src1_sel:WORD_1
	;; [unrolled: 1-line block ×5, first 2 shown]
	v_fmac_f16_e32 v58, v49, v73
	v_fma_f16 v25, v25, v65, -v84
	v_fmac_f16_e32 v53, v45, v65
	v_fma_f16 v23, v23, v66, -v85
	v_fmac_f16_e32 v32, v43, v66
	v_fmac_f16_e32 v31, v40, v67
	;; [unrolled: 1-line block ×4, first 2 shown]
	v_mul_f16_sdwa v42, v6, v69 dst_sel:DWORD dst_unused:UNUSED_PAD src0_sel:DWORD src1_sel:WORD_1
	v_mul_f16_sdwa v43, v16, v70 dst_sel:DWORD dst_unused:UNUSED_PAD src0_sel:DWORD src1_sel:WORD_1
	;; [unrolled: 1-line block ×7, first 2 shown]
	v_fma_f16 v46, v6, v69, -v46
	v_fma_f16 v6, v16, v70, -v48
	;; [unrolled: 1-line block ×3, first 2 shown]
	v_fmac_f16_e32 v47, v33, v78
	v_add_f16_e32 v17, v60, v28
	v_add_f16_e32 v33, v52, v29
	v_fma_f16 v20, v20, v67, -v79
	v_fma_f16 v27, v27, v68, -v62
	v_mul_f16_sdwa v62, v34, v72 dst_sel:DWORD dst_unused:UNUSED_PAD src0_sel:DWORD src1_sel:WORD_1
	v_fmac_f16_e32 v42, v7, v69
	v_fmac_f16_e32 v43, v38, v70
	v_fma_f16 v7, v21, v71, -v49
	v_fmac_f16_e32 v40, v41, v71
	v_fmac_f16_e32 v44, v34, v72
	;; [unrolled: 1-line block ×3, first 2 shown]
	v_sub_f16_e32 v21, v55, v59
	v_sub_f16_e32 v34, v56, v58
	v_add_f16_e32 v38, v51, v61
	v_sub_f16_e32 v39, v57, v54
	v_add_f16_e32 v41, v25, v22
	v_add_f16_e32 v49, v23, v24
	;; [unrolled: 1-line block ×3, first 2 shown]
	v_fma_f16 v11, v11, v72, -v62
	v_fma_f16 v10, v10, v78, -v64
	v_sub_f16_e32 v48, v53, v50
	v_sub_f16_e32 v62, v32, v26
	v_add_f16_e32 v63, v20, v27
	v_sub_f16_e32 v64, v30, v31
	v_sub_f16_e32 v66, v33, v17
	;; [unrolled: 1-line block ×4, first 2 shown]
	v_add_f16_e32 v67, v39, v34
	v_sub_f16_e32 v68, v39, v34
	v_sub_f16_e32 v34, v34, v21
	v_add_f16_e32 v69, v49, v41
	v_add_f16_e32 v38, v38, v65
	v_sub_f16_e32 v39, v21, v39
	v_sub_f16_e32 v70, v49, v41
	;; [unrolled: 1-line block ×4, first 2 shown]
	v_add_f16_e32 v71, v64, v62
	v_sub_f16_e32 v72, v64, v62
	v_sub_f16_e32 v62, v62, v48
	v_add_f16_e32 v21, v67, v21
	v_mul_f16_e32 v17, 0x3a52, v17
	v_mul_f16_e32 v65, 0x2b26, v33
	;; [unrolled: 1-line block ×4, first 2 shown]
	v_add_f16_e32 v63, v63, v69
	v_add_f16_e32 v8, v8, v38
	v_sub_f16_e32 v64, v48, v64
	v_add_f16_e32 v48, v71, v48
	v_mul_f16_e32 v41, 0x3a52, v41
	v_mul_f16_e32 v69, 0x2b26, v49
	;; [unrolled: 1-line block ×4, first 2 shown]
	v_fmamk_f16 v33, v33, 0x2b26, v17
	v_fma_f16 v65, v66, 0x39e0, -v65
	v_fma_f16 v17, v66, 0xb9e0, -v17
	v_fmamk_f16 v66, v39, 0x3574, v67
	v_fma_f16 v34, v34, 0x3b00, -v67
	v_fma_f16 v39, v39, 0xb574, -v68
	v_add_f16_e32 v9, v9, v63
	v_fmamk_f16 v38, v38, 0xbcab, v8
	v_fmamk_f16 v49, v49, 0x2b26, v41
	v_fma_f16 v67, v70, 0x39e0, -v69
	v_fma_f16 v41, v70, 0xb9e0, -v41
	v_fmamk_f16 v68, v64, 0x3574, v71
	v_fma_f16 v62, v62, 0x3b00, -v71
	v_fma_f16 v64, v64, 0xb574, -v72
	v_fmac_f16_e32 v66, 0x370e, v21
	v_fmac_f16_e32 v34, 0x370e, v21
	;; [unrolled: 1-line block ×3, first 2 shown]
	v_fmamk_f16 v21, v63, 0xbcab, v9
	ds_write_b16 v37, v8
	v_add_f16_e32 v8, v33, v38
	v_add_f16_e32 v17, v17, v38
	;; [unrolled: 1-line block ×3, first 2 shown]
	v_fmac_f16_e32 v68, 0x370e, v48
	v_fmac_f16_e32 v62, 0x370e, v48
	;; [unrolled: 1-line block ×3, first 2 shown]
	v_add_f16_e32 v38, v49, v21
	v_add_f16_e32 v48, v67, v21
	;; [unrolled: 1-line block ×5, first 2 shown]
	v_sub_f16_e32 v63, v33, v34
	v_add_f16_e32 v33, v34, v33
	v_sub_f16_e32 v17, v17, v39
	v_sub_f16_e32 v8, v8, v66
	v_add_f16_e32 v34, v68, v38
	v_add_f16_e32 v39, v64, v21
	v_sub_f16_e32 v65, v48, v62
	v_add_f16_e32 v48, v62, v48
	v_sub_f16_e32 v21, v21, v64
	v_sub_f16_e32 v38, v38, v68
	ds_write_b16 v37, v41 offset:96
	ds_write_b16 v37, v49 offset:192
	;; [unrolled: 1-line block ×6, first 2 shown]
	ds_write_b16 v36, v9
	ds_write_b16 v36, v34 offset:96
	ds_write_b16 v36, v39 offset:192
	;; [unrolled: 1-line block ×6, first 2 shown]
	s_and_saveexec_b32 s1, s0
	s_cbranch_execz .LBB0_49
; %bb.48:
	v_add_f16_e32 v8, v46, v10
	v_add_f16_e32 v9, v6, v16
	;; [unrolled: 1-line block ×3, first 2 shown]
	v_sub_f16_e32 v33, v44, v40
	v_sub_f16_e32 v38, v43, v45
	;; [unrolled: 1-line block ×3, first 2 shown]
	v_add_f16_e32 v34, v9, v8
	v_sub_f16_e32 v39, v8, v17
	v_sub_f16_e32 v41, v17, v9
	;; [unrolled: 1-line block ×4, first 2 shown]
	v_add_f16_e32 v17, v17, v34
	v_sub_f16_e32 v34, v33, v38
	v_add_f16_e32 v33, v33, v38
	v_sub_f16_e32 v38, v38, v21
	v_mul_f16_e32 v9, 0x3a52, v39
	v_add_f16_e32 v5, v5, v17
	v_mul_f16_e32 v34, 0xb846, v34
	v_add_f16_e32 v21, v33, v21
	v_mul_f16_e32 v39, 0x3b00, v38
	v_fmamk_f16 v33, v41, 0x2b26, v9
	v_mul_f16_e32 v41, 0x2b26, v41
	v_fmamk_f16 v17, v17, 0xbcab, v5
	v_fmamk_f16 v49, v48, 0x3574, v34
	v_fma_f16 v9, v8, 0xb9e0, -v9
	v_fma_f16 v39, v48, 0xb574, -v39
	;; [unrolled: 1-line block ×4, first 2 shown]
	v_add_f16_e32 v33, v33, v17
	v_fmac_f16_e32 v49, 0x370e, v21
	v_add_f16_e32 v9, v9, v17
	v_fmac_f16_e32 v39, 0x370e, v21
	v_fmac_f16_e32 v34, 0x370e, v21
	v_add_f16_e32 v8, v8, v17
	v_sub_f16_e32 v17, v33, v49
	v_add_f16_e32 v33, v49, v33
	v_sub_f16_e32 v21, v9, v39
	;; [unrolled: 2-line block ×3, first 2 shown]
	v_add_f16_e32 v8, v34, v8
	ds_write_b16 v35, v5 offset:2688
	ds_write_b16 v35, v33 offset:2784
	;; [unrolled: 1-line block ×7, first 2 shown]
.LBB0_49:
	s_or_b32 exec_lo, exec_lo, s1
	v_add_f16_e32 v5, v55, v59
	v_add_f16_e32 v8, v56, v58
	v_sub_f16_e32 v9, v60, v28
	v_add_f16_e32 v17, v54, v57
	v_sub_f16_e32 v21, v52, v29
	v_sub_f16_e32 v28, v61, v51
	v_add_f16_e32 v29, v8, v5
	v_sub_f16_e32 v33, v8, v5
	v_sub_f16_e32 v5, v5, v17
	;; [unrolled: 1-line block ×3, first 2 shown]
	v_add_f16_e32 v34, v28, v21
	v_add_f16_e32 v17, v17, v29
	v_sub_f16_e32 v29, v28, v21
	v_sub_f16_e32 v28, v9, v28
	;; [unrolled: 1-line block ×3, first 2 shown]
	v_add_f16_e32 v9, v34, v9
	v_add_f16_e32 v3, v3, v17
	v_mul_f16_e32 v34, 0x2b26, v8
	v_mul_f16_e32 v29, 0xb846, v29
	;; [unrolled: 1-line block ×4, first 2 shown]
	v_fmamk_f16 v17, v17, 0xbcab, v3
	v_fma_f16 v34, v33, 0x39e0, -v34
	v_fma_f16 v21, v21, 0x3b00, -v29
	v_fmamk_f16 v8, v8, 0x2b26, v5
	v_fma_f16 v5, v33, 0xb9e0, -v5
	v_fmamk_f16 v33, v28, 0x3574, v29
	v_add_f16_e32 v29, v34, v17
	v_fmac_f16_e32 v21, 0x370e, v9
	v_fma_f16 v28, v28, 0xb574, -v38
	v_add_f16_e32 v26, v32, v26
	v_sub_f16_e32 v22, v25, v22
	v_add_f16_e32 v25, v31, v30
	v_add_f16_e32 v38, v21, v29
	v_sub_f16_e32 v39, v29, v21
	v_add_f16_e32 v21, v53, v50
	v_sub_f16_e32 v23, v23, v24
	v_sub_f16_e32 v20, v27, v20
	v_add_f16_e32 v8, v8, v17
	v_add_f16_e32 v5, v5, v17
	;; [unrolled: 1-line block ×3, first 2 shown]
	v_sub_f16_e32 v27, v26, v21
	v_sub_f16_e32 v21, v21, v25
	;; [unrolled: 1-line block ×3, first 2 shown]
	v_add_f16_e32 v29, v20, v23
	v_add_f16_e32 v24, v25, v24
	v_sub_f16_e32 v25, v20, v23
	v_sub_f16_e32 v20, v22, v20
	;; [unrolled: 1-line block ×3, first 2 shown]
	v_add_f16_e32 v22, v29, v22
	v_add_f16_e32 v2, v2, v24
	v_mul_f16_e32 v29, 0x2b26, v26
	v_mul_f16_e32 v25, 0xb846, v25
	;; [unrolled: 1-line block ×4, first 2 shown]
	v_fmamk_f16 v24, v24, 0xbcab, v2
	v_fma_f16 v29, v27, 0x39e0, -v29
	v_fma_f16 v23, v23, 0x3b00, -v25
	v_fmac_f16_e32 v33, 0x370e, v9
	v_fmac_f16_e32 v28, 0x370e, v9
	v_fmamk_f16 v26, v26, 0x2b26, v21
	v_fma_f16 v21, v27, 0xb9e0, -v21
	v_fmamk_f16 v41, v20, 0x3574, v25
	v_fma_f16 v48, v20, 0xb574, -v30
	v_add_f16_e32 v20, v29, v24
	v_fmac_f16_e32 v23, 0x370e, v22
	v_sub_f16_e32 v9, v8, v33
	v_sub_f16_e32 v17, v5, v28
	v_add_f16_e32 v49, v26, v24
	v_add_f16_e32 v50, v21, v24
	v_fmac_f16_e32 v41, 0x370e, v22
	v_fmac_f16_e32 v48, 0x370e, v22
	v_add_f16_e32 v5, v28, v5
	v_add_f16_e32 v8, v33, v8
	v_add_f16_e32 v53, v23, v20
	v_sub_f16_e32 v54, v20, v23
	s_waitcnt lgkmcnt(0)
	s_barrier
	buffer_gl0_inv
	ds_read_u16 v20, v19
	ds_read_u16 v21, v19 offset:224
	ds_read_u16 v27, v19 offset:896
	;; [unrolled: 1-line block ×14, first 2 shown]
	v_sub_f16_e32 v51, v49, v41
	v_sub_f16_e32 v52, v50, v48
	v_add_f16_e32 v48, v48, v50
	v_add_f16_e32 v41, v41, v49
	s_waitcnt lgkmcnt(0)
	s_barrier
	buffer_gl0_inv
	ds_write_b16 v37, v3
	ds_write_b16 v37, v9 offset:96
	ds_write_b16 v37, v17 offset:192
	;; [unrolled: 1-line block ×6, first 2 shown]
	ds_write_b16 v36, v2
	ds_write_b16 v36, v51 offset:96
	ds_write_b16 v36, v52 offset:192
	;; [unrolled: 1-line block ×6, first 2 shown]
	s_and_saveexec_b32 s1, s0
	s_cbranch_execz .LBB0_51
; %bb.50:
	v_add_f16_e32 v2, v42, v47
	v_add_f16_e32 v3, v43, v45
	;; [unrolled: 1-line block ×3, first 2 shown]
	v_sub_f16_e32 v6, v6, v16
	v_sub_f16_e32 v7, v11, v7
	;; [unrolled: 1-line block ×3, first 2 shown]
	v_add_f16_e32 v9, v3, v2
	v_sub_f16_e32 v10, v3, v2
	v_sub_f16_e32 v2, v2, v8
	;; [unrolled: 1-line block ×3, first 2 shown]
	v_add_f16_e32 v11, v7, v6
	v_add_f16_e32 v8, v8, v9
	v_sub_f16_e32 v9, v7, v6
	v_sub_f16_e32 v6, v6, v5
	;; [unrolled: 1-line block ×3, first 2 shown]
	v_add_f16_e32 v5, v11, v5
	v_add_f16_e32 v4, v4, v8
	v_mul_f16_e32 v2, 0x3a52, v2
	v_mul_f16_e32 v11, 0x2b26, v3
	;; [unrolled: 1-line block ×4, first 2 shown]
	v_fmamk_f16 v8, v8, 0xbcab, v4
	v_fmamk_f16 v3, v3, 0x2b26, v2
	v_fma_f16 v11, v10, 0x39e0, -v11
	v_fma_f16 v2, v10, 0xb9e0, -v2
	v_fmamk_f16 v10, v7, 0x3574, v9
	v_fma_f16 v7, v7, 0xb574, -v16
	v_fma_f16 v6, v6, 0x3b00, -v9
	v_add_f16_e32 v3, v3, v8
	v_add_f16_e32 v2, v2, v8
	v_fmac_f16_e32 v10, 0x370e, v5
	v_fmac_f16_e32 v7, 0x370e, v5
	v_add_f16_e32 v9, v11, v8
	v_fmac_f16_e32 v6, 0x370e, v5
	v_sub_f16_e32 v5, v3, v10
	v_sub_f16_e32 v8, v2, v7
	v_add_f16_e32 v2, v7, v2
	v_add_f16_e32 v11, v6, v9
	v_sub_f16_e32 v6, v9, v6
	v_add_f16_e32 v3, v10, v3
	ds_write_b16 v35, v4 offset:2688
	ds_write_b16 v35, v5 offset:2784
	;; [unrolled: 1-line block ×7, first 2 shown]
.LBB0_51:
	s_or_b32 exec_lo, exec_lo, s1
	s_waitcnt lgkmcnt(0)
	s_barrier
	buffer_gl0_inv
	s_and_saveexec_b32 s0, vcc_lo
	s_cbranch_execz .LBB0_53
; %bb.52:
	v_lshlrev_b32_e32 v16, 2, v1
	v_mov_b32_e32 v17, 0
	v_add_nc_u32_e32 v41, 0x70, v18
	v_add_nc_u32_e32 v43, 0xe0, v18
	v_lshrrev_b32_e32 v40, 4, v18
	v_mul_lo_u32 v37, s2, v15
	v_lshlrev_b64 v[1:2], 2, v[16:17]
	v_lshlrev_b32_e32 v16, 2, v0
	v_lshrrev_b32_e32 v42, 4, v41
	v_mad_u64_u32 v[38:39], null, s2, v14, 0
	v_mul_hi_u32 v45, 0x18618619, v40
	v_lshlrev_b64 v[4:5], 2, v[16:17]
	v_add_co_u32 v0, vcc_lo, s12, v1
	v_add_co_ci_u32_e32 v1, vcc_lo, s13, v2, vcc_lo
	v_lshlrev_b32_e32 v16, 2, v18
	v_add_co_u32 v4, vcc_lo, s12, v4
	v_add_co_ci_u32_e32 v5, vcc_lo, s13, v5, vcc_lo
	global_load_dwordx4 v[0:3], v[0:1], off offset:1336
	v_mul_hi_u32 v46, 0x18618619, v42
	v_lshrrev_b32_e32 v48, 1, v45
	global_load_dwordx4 v[8:11], v[4:5], off offset:1336
	v_lshlrev_b64 v[4:5], 2, v[16:17]
	v_mul_lo_u32 v16, s3, v14
	ds_read_u16 v14, v19 offset:1792
	v_lshlrev_b64 v[12:13], 2, v[12:13]
	v_mov_b32_e32 v44, v17
	v_mov_b32_e32 v45, v17
	v_add_co_u32 v4, vcc_lo, s12, v4
	v_add_co_ci_u32_e32 v5, vcc_lo, s13, v5, vcc_lo
	v_add3_u32 v39, v39, v37, v16
	v_lshrrev_b32_e32 v16, 1, v46
	v_mul_u32_u24_e32 v46, 0x150, v48
	global_load_dwordx4 v[4:7], v[4:5], off offset:1336
	ds_read_u16 v36, v19 offset:3136
	ds_read_u16 v35, v19 offset:2912
	;; [unrolled: 1-line block ×13, first 2 shown]
	ds_read_u16 v70, v19
	v_lshrrev_b32_e32 v19, 4, v43
	v_lshlrev_b64 v[37:38], 2, v[38:39]
	v_sub_nc_u32_e32 v18, v18, v46
	v_mov_b32_e32 v47, v17
	v_mov_b32_e32 v49, v17
	v_mul_hi_u32 v19, 0x18618619, v19
	v_mov_b32_e32 v40, v17
	v_add_co_u32 v37, vcc_lo, s10, v37
	v_add_co_ci_u32_e32 v38, vcc_lo, s11, v38, vcc_lo
	v_lshlrev_b32_e32 v46, 2, v18
	v_add_co_u32 v18, vcc_lo, v37, v12
	v_lshrrev_b32_e32 v48, 1, v19
	v_mul_u32_u24_e32 v19, 0x150, v16
	v_mov_b32_e32 v42, v17
	v_mul_u32_u24_e32 v39, 0x150, v48
	v_sub_nc_u32_e32 v41, v41, v19
	v_add_co_ci_u32_e32 v19, vcc_lo, v38, v13, vcc_lo
	v_add_co_u32 v12, vcc_lo, v18, v46
	v_mad_u32_u24 v16, 0x690, v16, v41
	v_sub_nc_u32_e32 v58, v43, v39
	v_add_co_ci_u32_e32 v13, vcc_lo, 0, v19, vcc_lo
	v_add_co_u32 v50, vcc_lo, 0x800, v12
	v_lshlrev_b64 v[37:38], 2, v[16:17]
	v_add_nc_u32_e32 v39, 0x150, v16
	v_add_nc_u32_e32 v41, 0x2a0, v16
	;; [unrolled: 1-line block ×4, first 2 shown]
	v_add_co_ci_u32_e32 v51, vcc_lo, 0, v13, vcc_lo
	v_add_co_u32 v52, vcc_lo, 0x1000, v12
	v_lshlrev_b64 v[56:57], 2, v[16:17]
	v_mad_u32_u24 v16, 0x690, v48, v58
	v_lshlrev_b64 v[54:55], 2, v[43:44]
	v_lshlrev_b64 v[39:40], 2, v[39:40]
	v_add_co_ci_u32_e32 v53, vcc_lo, 0, v13, vcc_lo
	v_add_nc_u32_e32 v44, 0x150, v16
	v_add_nc_u32_e32 v46, 0x2a0, v16
	;; [unrolled: 1-line block ×3, first 2 shown]
	v_lshlrev_b64 v[41:42], 2, v[41:42]
	v_add_co_u32 v37, vcc_lo, v18, v37
	v_lshlrev_b64 v[43:44], 2, v[44:45]
	v_lshlrev_b64 v[45:46], 2, v[46:47]
	;; [unrolled: 1-line block ×3, first 2 shown]
	v_add_co_ci_u32_e32 v38, vcc_lo, v19, v38, vcc_lo
	v_add_co_u32 v39, vcc_lo, v18, v39
	v_add_co_ci_u32_e32 v40, vcc_lo, v19, v40, vcc_lo
	v_add_co_u32 v41, vcc_lo, v18, v41
	v_add_co_ci_u32_e32 v42, vcc_lo, v19, v42, vcc_lo
	v_lshlrev_b64 v[58:59], 2, v[16:17]
	v_add_co_u32 v54, vcc_lo, v18, v54
	v_add_co_ci_u32_e32 v55, vcc_lo, v19, v55, vcc_lo
	v_add_co_u32 v56, vcc_lo, v18, v56
	v_add_co_ci_u32_e32 v57, vcc_lo, v19, v57, vcc_lo
	v_add_co_u32 v58, vcc_lo, v18, v58
	v_add_nc_u32_e32 v16, 0x540, v16
	v_add_co_ci_u32_e32 v59, vcc_lo, v19, v59, vcc_lo
	v_add_co_u32 v43, vcc_lo, v18, v43
	v_add_co_ci_u32_e32 v44, vcc_lo, v19, v44, vcc_lo
	v_lshlrev_b64 v[16:17], 2, v[16:17]
	v_add_co_u32 v45, vcc_lo, v18, v45
	v_add_co_ci_u32_e32 v46, vcc_lo, v19, v46, vcc_lo
	s_waitcnt vmcnt(2)
	v_lshrrev_b32_e32 v49, 16, v0
	v_lshrrev_b32_e32 v71, 16, v1
	v_lshrrev_b32_e32 v72, 16, v2
	v_lshrrev_b32_e32 v73, 16, v3
	s_waitcnt lgkmcnt(5)
	v_mul_f16_e32 v74, v0, v65
	v_mul_f16_e32 v75, v1, v14
	;; [unrolled: 1-line block ×8, first 2 shown]
	s_waitcnt vmcnt(1)
	v_lshrrev_b32_e32 v78, 16, v8
	v_lshrrev_b32_e32 v79, 16, v9
	;; [unrolled: 1-line block ×4, first 2 shown]
	s_waitcnt lgkmcnt(4)
	v_mul_f16_e32 v82, v8, v66
	v_mul_f16_e32 v83, v9, v63
	;; [unrolled: 1-line block ×4, first 2 shown]
	v_fmac_f16_e32 v74, v31, v49
	v_fmac_f16_e32 v75, v34, v71
	;; [unrolled: 1-line block ×4, first 2 shown]
	v_fma_f16 v1, v34, v1, -v14
	v_fma_f16 v2, v33, v2, -v60
	;; [unrolled: 1-line block ×4, first 2 shown]
	v_mul_f16_e32 v14, v79, v63
	v_mul_f16_e32 v31, v80, v61
	;; [unrolled: 1-line block ×4, first 2 shown]
	s_waitcnt vmcnt(0)
	v_lshrrev_b32_e32 v34, 16, v4
	v_lshrrev_b32_e32 v35, 16, v5
	;; [unrolled: 1-line block ×4, first 2 shown]
	s_waitcnt lgkmcnt(3)
	v_mul_f16_e32 v60, v4, v67
	v_mul_f16_e32 v61, v5, v64
	;; [unrolled: 1-line block ×4, first 2 shown]
	v_fmac_f16_e32 v82, v27, v78
	v_sub_f16_e32 v66, v74, v75
	v_fmac_f16_e32 v83, v28, v79
	v_sub_f16_e32 v71, v76, v77
	v_add_f16_e32 v72, v75, v77
	v_fmac_f16_e32 v84, v30, v81
	v_sub_f16_e32 v73, v74, v76
	v_fmac_f16_e32 v85, v29, v80
	v_sub_f16_e32 v79, v75, v74
	v_sub_f16_e32 v80, v77, v76
	v_add_f16_e32 v81, v74, v76
	s_waitcnt lgkmcnt(2)
	v_add_f16_e32 v74, v74, v68
	v_sub_f16_e32 v78, v75, v77
	v_fma_f16 v9, v28, v9, -v14
	v_fma_f16 v10, v29, v10, -v31
	;; [unrolled: 1-line block ×4, first 2 shown]
	v_mul_f16_e32 v14, v35, v64
	v_mul_f16_e32 v27, v36, v62
	;; [unrolled: 1-line block ×4, first 2 shown]
	v_add_f16_e32 v29, v66, v71
	v_fmac_f16_e32 v60, v24, v34
	v_sub_f16_e32 v31, v0, v3
	v_fma_f16 v32, -0.5, v72, v68
	v_fmac_f16_e32 v61, v23, v35
	v_sub_f16_e32 v33, v0, v1
	v_sub_f16_e32 v34, v3, v2
	v_add_f16_e32 v35, v79, v80
	v_add_f16_e32 v62, v1, v2
	v_fma_f16 v64, -0.5, v81, v68
	v_sub_f16_e32 v66, v1, v0
	v_fmac_f16_e32 v63, v25, v49
	v_sub_f16_e32 v49, v2, v3
	v_add_f16_e32 v67, v0, v3
	v_add_f16_e32 v68, v75, v74
	;; [unrolled: 1-line block ×3, first 2 shown]
	v_sub_f16_e32 v71, v82, v83
	v_fmac_f16_e32 v65, v26, v36
	v_sub_f16_e32 v36, v84, v85
	v_add_f16_e32 v72, v83, v85
	v_sub_f16_e32 v75, v83, v82
	v_sub_f16_e32 v79, v85, v84
	v_add_f16_e32 v80, v82, v84
	s_waitcnt lgkmcnt(1)
	v_add_f16_e32 v81, v82, v69
	v_sub_f16_e32 v30, v1, v2
	v_sub_f16_e32 v74, v83, v85
	v_fma_f16 v5, v23, v5, -v14
	v_fma_f16 v6, v26, v6, -v27
	;; [unrolled: 1-line block ×4, first 2 shown]
	v_add_f16_e32 v14, v33, v34
	v_add_f16_e32 v15, v66, v49
	v_fma_f16 v23, -0.5, v62, v22
	v_fma_f16 v22, -0.5, v67, v22
	v_add_f16_e32 v24, v77, v68
	v_add_f16_e32 v0, v0, v1
	;; [unrolled: 1-line block ×3, first 2 shown]
	v_fmamk_f16 v25, v31, 0x3b9c, v32
	v_add_f16_e32 v26, v75, v79
	v_fmac_f16_e32 v32, 0xbb9c, v31
	v_fma_f16 v28, -0.5, v72, v69
	v_fma_f16 v33, -0.5, v80, v69
	v_sub_f16_e32 v34, v8, v9
	v_add_f16_e32 v36, v83, v81
	v_sub_f16_e32 v49, v11, v10
	v_sub_f16_e32 v66, v9, v8
	;; [unrolled: 1-line block ×5, first 2 shown]
	v_add_f16_e32 v71, v8, v11
	v_add_f16_e32 v77, v21, v8
	v_add_f16_e32 v79, v61, v65
	v_add_f16_e32 v80, v60, v63
	v_sub_f16_e32 v81, v9, v10
	v_sub_f16_e32 v8, v8, v11
	s_waitcnt lgkmcnt(0)
	v_add_f16_e32 v83, v60, v70
	v_fmamk_f16 v27, v30, 0xbb9c, v64
	v_fmac_f16_e32 v64, 0x3b9c, v30
	v_add_f16_e32 v62, v9, v10
	v_sub_f16_e32 v72, v61, v60
	v_sub_f16_e32 v75, v65, v63
	;; [unrolled: 1-line block ×3, first 2 shown]
	v_fmac_f16_e32 v25, 0x38b4, v30
	v_fmac_f16_e32 v32, 0xb8b4, v30
	v_add_f16_e32 v0, v0, v2
	v_add_f16_e32 v2, v34, v49
	;; [unrolled: 1-line block ×5, first 2 shown]
	v_fma_f16 v67, -0.5, v79, v70
	v_fma_f16 v68, -0.5, v80, v70
	v_fmamk_f16 v69, v81, 0xbb9c, v33
	v_fmac_f16_e32 v33, 0x3b9c, v81
	v_fmamk_f16 v70, v8, 0x3b9c, v28
	v_fmac_f16_e32 v28, 0xbb9c, v8
	v_add_f16_e32 v61, v61, v83
	v_add_f16_e32 v77, v5, v6
	;; [unrolled: 1-line block ×4, first 2 shown]
	v_sub_f16_e32 v60, v60, v63
	v_fmac_f16_e32 v27, 0x38b4, v31
	v_fmac_f16_e32 v64, 0xb8b4, v31
	v_add_f16_e32 v31, v85, v36
	v_fma_f16 v36, -0.5, v62, v21
	v_fma_f16 v21, -0.5, v71, v21
	v_add_f16_e32 v49, v72, v75
	v_sub_f16_e32 v71, v4, v5
	v_sub_f16_e32 v75, v5, v4
	;; [unrolled: 1-line block ×3, first 2 shown]
	v_fmac_f16_e32 v25, 0x34f2, v29
	v_fmac_f16_e32 v32, 0x34f2, v29
	;; [unrolled: 1-line block ×6, first 2 shown]
	v_add_f16_e32 v8, v9, v10
	v_add_f16_e32 v29, v65, v61
	v_fma_f16 v61, -0.5, v77, v20
	v_sub_f16_e32 v72, v7, v6
	v_sub_f16_e32 v83, v5, v6
	v_fma_f16 v20, -0.5, v79, v20
	v_add_f16_e32 v5, v80, v5
	v_sub_f16_e32 v82, v82, v84
	v_fmamk_f16 v65, v4, 0x3b9c, v67
	v_fmac_f16_e32 v67, 0xbb9c, v4
	v_fmac_f16_e32 v70, 0x34f2, v1
	;; [unrolled: 1-line block ×3, first 2 shown]
	v_add_f16_e32 v1, v11, v8
	v_fmamk_f16 v8, v60, 0xbb9c, v61
	v_fmac_f16_e32 v61, 0x3b9c, v60
	v_add_f16_e32 v24, v76, v24
	v_sub_f16_e32 v76, v6, v7
	v_add_f16_e32 v9, v71, v72
	v_fmamk_f16 v71, v83, 0xbb9c, v68
	v_fmac_f16_e32 v68, 0x3b9c, v83
	v_add_f16_e32 v5, v5, v6
	v_fmamk_f16 v6, v86, 0x3b9c, v20
	v_fmac_f16_e32 v20, 0xbb9c, v86
	v_fmac_f16_e32 v27, 0x34f2, v35
	;; [unrolled: 1-line block ×3, first 2 shown]
	v_add_f16_e32 v0, v3, v0
	v_add_f16_e32 v3, v84, v31
	v_fmamk_f16 v31, v74, 0x3b9c, v21
	v_fmac_f16_e32 v21, 0xbb9c, v74
	v_fmamk_f16 v35, v82, 0xbb9c, v36
	v_fmac_f16_e32 v36, 0x3b9c, v82
	v_fmac_f16_e32 v67, 0xb8b4, v83
	;; [unrolled: 1-line block ×3, first 2 shown]
	v_fmamk_f16 v66, v73, 0xbb9c, v23
	v_fmac_f16_e32 v23, 0x3b9c, v73
	v_add_f16_e32 v10, v75, v76
	v_fmac_f16_e32 v68, 0xb8b4, v4
	v_fmac_f16_e32 v20, 0x38b4, v60
	v_fmamk_f16 v62, v78, 0x3b9c, v22
	v_fmac_f16_e32 v22, 0xbb9c, v78
	v_fmac_f16_e32 v71, 0x38b4, v4
	;; [unrolled: 1-line block ×9, first 2 shown]
	v_add_f16_e32 v4, v63, v29
	v_pack_b32_f16 v11, v0, v24
	v_add_f16_e32 v0, v7, v5
	v_fmac_f16_e32 v67, 0x34f2, v34
	v_fmac_f16_e32 v61, 0x34f2, v9
	;; [unrolled: 1-line block ×18, first 2 shown]
	v_pack_b32_f16 v0, v0, v4
	v_pack_b32_f16 v10, v61, v67
	v_fmac_f16_e32 v66, 0x34f2, v14
	v_fmac_f16_e32 v23, 0x34f2, v14
	v_pack_b32_f16 v14, v20, v68
	v_fmac_f16_e32 v22, 0x34f2, v15
	v_pack_b32_f16 v6, v6, v71
	;; [unrolled: 2-line block ×3, first 2 shown]
	v_pack_b32_f16 v1, v1, v3
	v_pack_b32_f16 v2, v36, v28
	;; [unrolled: 1-line block ×5, first 2 shown]
	global_store_dword v[12:13], v0, off
	global_store_dword v[12:13], v10, off offset:1344
	global_store_dword v[50:51], v14, off offset:640
	global_store_dword v[50:51], v6, off offset:1984
	global_store_dword v[52:53], v8, off offset:1280
	global_store_dword v[37:38], v1, off
	global_store_dword v[39:40], v2, off
	;; [unrolled: 1-line block ×5, first 2 shown]
	v_add_co_u32 v0, vcc_lo, v18, v47
	v_pack_b32_f16 v5, v23, v32
	v_add_co_ci_u32_e32 v1, vcc_lo, v19, v48, vcc_lo
	v_pack_b32_f16 v7, v22, v64
	v_add_co_u32 v2, vcc_lo, v18, v16
	v_pack_b32_f16 v4, v62, v27
	v_add_co_ci_u32_e32 v3, vcc_lo, v19, v17, vcc_lo
	v_pack_b32_f16 v6, v66, v25
	global_store_dword v[58:59], v11, off
	global_store_dword v[43:44], v5, off
	;; [unrolled: 1-line block ×5, first 2 shown]
.LBB0_53:
	s_endpgm
	.section	.rodata,"a",@progbits
	.p2align	6, 0x0
	.amdhsa_kernel fft_rtc_fwd_len1680_factors_2_2_2_2_3_7_5_wgs_112_tpt_112_halfLds_half_op_CI_CI_unitstride_sbrr_dirReg
		.amdhsa_group_segment_fixed_size 0
		.amdhsa_private_segment_fixed_size 0
		.amdhsa_kernarg_size 104
		.amdhsa_user_sgpr_count 6
		.amdhsa_user_sgpr_private_segment_buffer 1
		.amdhsa_user_sgpr_dispatch_ptr 0
		.amdhsa_user_sgpr_queue_ptr 0
		.amdhsa_user_sgpr_kernarg_segment_ptr 1
		.amdhsa_user_sgpr_dispatch_id 0
		.amdhsa_user_sgpr_flat_scratch_init 0
		.amdhsa_user_sgpr_private_segment_size 0
		.amdhsa_wavefront_size32 1
		.amdhsa_uses_dynamic_stack 0
		.amdhsa_system_sgpr_private_segment_wavefront_offset 0
		.amdhsa_system_sgpr_workgroup_id_x 1
		.amdhsa_system_sgpr_workgroup_id_y 0
		.amdhsa_system_sgpr_workgroup_id_z 0
		.amdhsa_system_sgpr_workgroup_info 0
		.amdhsa_system_vgpr_workitem_id 0
		.amdhsa_next_free_vgpr 87
		.amdhsa_next_free_sgpr 27
		.amdhsa_reserve_vcc 1
		.amdhsa_reserve_flat_scratch 0
		.amdhsa_float_round_mode_32 0
		.amdhsa_float_round_mode_16_64 0
		.amdhsa_float_denorm_mode_32 3
		.amdhsa_float_denorm_mode_16_64 3
		.amdhsa_dx10_clamp 1
		.amdhsa_ieee_mode 1
		.amdhsa_fp16_overflow 0
		.amdhsa_workgroup_processor_mode 1
		.amdhsa_memory_ordered 1
		.amdhsa_forward_progress 0
		.amdhsa_shared_vgpr_count 0
		.amdhsa_exception_fp_ieee_invalid_op 0
		.amdhsa_exception_fp_denorm_src 0
		.amdhsa_exception_fp_ieee_div_zero 0
		.amdhsa_exception_fp_ieee_overflow 0
		.amdhsa_exception_fp_ieee_underflow 0
		.amdhsa_exception_fp_ieee_inexact 0
		.amdhsa_exception_int_div_zero 0
	.end_amdhsa_kernel
	.text
.Lfunc_end0:
	.size	fft_rtc_fwd_len1680_factors_2_2_2_2_3_7_5_wgs_112_tpt_112_halfLds_half_op_CI_CI_unitstride_sbrr_dirReg, .Lfunc_end0-fft_rtc_fwd_len1680_factors_2_2_2_2_3_7_5_wgs_112_tpt_112_halfLds_half_op_CI_CI_unitstride_sbrr_dirReg
                                        ; -- End function
	.section	.AMDGPU.csdata,"",@progbits
; Kernel info:
; codeLenInByte = 12804
; NumSgprs: 29
; NumVgprs: 87
; ScratchSize: 0
; MemoryBound: 0
; FloatMode: 240
; IeeeMode: 1
; LDSByteSize: 0 bytes/workgroup (compile time only)
; SGPRBlocks: 3
; VGPRBlocks: 10
; NumSGPRsForWavesPerEU: 29
; NumVGPRsForWavesPerEU: 87
; Occupancy: 10
; WaveLimiterHint : 1
; COMPUTE_PGM_RSRC2:SCRATCH_EN: 0
; COMPUTE_PGM_RSRC2:USER_SGPR: 6
; COMPUTE_PGM_RSRC2:TRAP_HANDLER: 0
; COMPUTE_PGM_RSRC2:TGID_X_EN: 1
; COMPUTE_PGM_RSRC2:TGID_Y_EN: 0
; COMPUTE_PGM_RSRC2:TGID_Z_EN: 0
; COMPUTE_PGM_RSRC2:TIDIG_COMP_CNT: 0
	.text
	.p2alignl 6, 3214868480
	.fill 48, 4, 3214868480
	.type	__hip_cuid_34af8f4141ccce39,@object ; @__hip_cuid_34af8f4141ccce39
	.section	.bss,"aw",@nobits
	.globl	__hip_cuid_34af8f4141ccce39
__hip_cuid_34af8f4141ccce39:
	.byte	0                               ; 0x0
	.size	__hip_cuid_34af8f4141ccce39, 1

	.ident	"AMD clang version 19.0.0git (https://github.com/RadeonOpenCompute/llvm-project roc-6.4.0 25133 c7fe45cf4b819c5991fe208aaa96edf142730f1d)"
	.section	".note.GNU-stack","",@progbits
	.addrsig
	.addrsig_sym __hip_cuid_34af8f4141ccce39
	.amdgpu_metadata
---
amdhsa.kernels:
  - .args:
      - .actual_access:  read_only
        .address_space:  global
        .offset:         0
        .size:           8
        .value_kind:     global_buffer
      - .offset:         8
        .size:           8
        .value_kind:     by_value
      - .actual_access:  read_only
        .address_space:  global
        .offset:         16
        .size:           8
        .value_kind:     global_buffer
      - .actual_access:  read_only
        .address_space:  global
        .offset:         24
        .size:           8
        .value_kind:     global_buffer
      - .actual_access:  read_only
        .address_space:  global
        .offset:         32
        .size:           8
        .value_kind:     global_buffer
      - .offset:         40
        .size:           8
        .value_kind:     by_value
      - .actual_access:  read_only
        .address_space:  global
        .offset:         48
        .size:           8
        .value_kind:     global_buffer
      - .actual_access:  read_only
        .address_space:  global
        .offset:         56
        .size:           8
        .value_kind:     global_buffer
      - .offset:         64
        .size:           4
        .value_kind:     by_value
      - .actual_access:  read_only
        .address_space:  global
        .offset:         72
        .size:           8
        .value_kind:     global_buffer
      - .actual_access:  read_only
        .address_space:  global
        .offset:         80
        .size:           8
        .value_kind:     global_buffer
      - .actual_access:  read_only
        .address_space:  global
        .offset:         88
        .size:           8
        .value_kind:     global_buffer
      - .actual_access:  write_only
        .address_space:  global
        .offset:         96
        .size:           8
        .value_kind:     global_buffer
    .group_segment_fixed_size: 0
    .kernarg_segment_align: 8
    .kernarg_segment_size: 104
    .language:       OpenCL C
    .language_version:
      - 2
      - 0
    .max_flat_workgroup_size: 112
    .name:           fft_rtc_fwd_len1680_factors_2_2_2_2_3_7_5_wgs_112_tpt_112_halfLds_half_op_CI_CI_unitstride_sbrr_dirReg
    .private_segment_fixed_size: 0
    .sgpr_count:     29
    .sgpr_spill_count: 0
    .symbol:         fft_rtc_fwd_len1680_factors_2_2_2_2_3_7_5_wgs_112_tpt_112_halfLds_half_op_CI_CI_unitstride_sbrr_dirReg.kd
    .uniform_work_group_size: 1
    .uses_dynamic_stack: false
    .vgpr_count:     87
    .vgpr_spill_count: 0
    .wavefront_size: 32
    .workgroup_processor_mode: 1
amdhsa.target:   amdgcn-amd-amdhsa--gfx1030
amdhsa.version:
  - 1
  - 2
...

	.end_amdgpu_metadata
